;; amdgpu-corpus repo=zjin-lcf/HeCBench kind=compiled arch=gfx1250 opt=O3
	.amdgcn_target "amdgcn-amd-amdhsa--gfx1250"
	.amdhsa_code_object_version 6
	.section	.text._Z9kQuantizeILi256ELi256EEvPKfS1_Phi,"axG",@progbits,_Z9kQuantizeILi256ELi256EEvPKfS1_Phi,comdat
	.protected	_Z9kQuantizeILi256ELi256EEvPKfS1_Phi ; -- Begin function _Z9kQuantizeILi256ELi256EEvPKfS1_Phi
	.globl	_Z9kQuantizeILi256ELi256EEvPKfS1_Phi
	.p2align	8
	.type	_Z9kQuantizeILi256ELi256EEvPKfS1_Phi,@function
_Z9kQuantizeILi256ELi256EEvPKfS1_Phi:   ; @_Z9kQuantizeILi256ELi256EEvPKfS1_Phi
; %bb.0:
	s_load_b32 s4, s[0:1], 0x20
	s_mov_b32 s5, exec_lo
	v_cmpx_gt_u32_e32 0x100, v0
	s_cbranch_execz .LBB0_13
; %bb.1:
	s_add_nc_u64 s[6:7], s[0:1], 32
	v_cmp_ne_u32_e32 vcc_lo, 0xff, v0
	s_load_b32 s8, s[6:7], 0xc
	s_load_b64 s[2:3], s[0:1], 0x0
	v_mov_b32_e32 v1, v0
	s_wait_kmcnt 0x0
	s_and_b32 s6, s8, 0xffff
	s_mov_b32 s8, -1
	s_cmp_eq_u32 s6, 1
	s_cselect_b32 s7, -1, 0
	s_delay_alu instid0(SALU_CYCLE_1) | instskip(NEXT) | instid1(SALU_CYCLE_1)
	s_and_b32 s9, vcc_lo, s7
	s_and_saveexec_b32 s7, s9
	s_cbranch_execz .LBB0_10
; %bb.2:
	v_sub_nc_u32_e32 v1, 0xfe, v0
	s_delay_alu instid0(VALU_DEP_1) | instskip(SKIP_1) | instid1(VALU_DEP_2)
	v_lshrrev_b32_e32 v2, 1, v1
	v_cmp_lt_u32_e32 vcc_lo, 13, v1
	v_dual_mov_b32 v2, 0 :: v_dual_add_nc_u32 v1, 1, v2
	s_and_saveexec_b32 s8, vcc_lo
	s_cbranch_execz .LBB0_6
; %bb.3:
	s_delay_alu instid0(VALU_DEP_1)
	v_dual_lshlrev_b32 v5, 2, v0 :: v_dual_bitop2_b32 v4, -8, v1 bitop3:0x40
	v_mov_b32_e32 v3, 0
	s_mov_b32 s9, 0
	s_mov_b32 s10, 0
.LBB0_4:                                ; =>This Inner Loop Header: Depth=1
	s_delay_alu instid0(VALU_DEP_1) | instid1(SALU_CYCLE_1)
	v_dual_mov_b32 v7, v3 :: v_dual_add_nc_u32 v2, s10, v0
	v_dual_mov_b32 v17, v3 :: v_dual_mov_b32 v9, v3
	s_delay_alu instid0(VALU_DEP_2)
	v_dual_mov_b32 v11, v3 :: v_dual_add_nc_u32 v6, 2, v2
	v_dual_add_nc_u32 v8, 4, v2 :: v_dual_add_nc_u32 v10, 6, v2
	v_dual_mov_b32 v13, v3 :: v_dual_mov_b32 v15, v3
	v_dual_add_nc_u32 v12, 8, v2 :: v_dual_add_nc_u32 v14, 10, v2
	v_lshl_add_u64 v[18:19], v[2:3], 2, s[2:3]
	v_dual_add_nc_u32 v16, 12, v2 :: v_dual_add_nc_u32 v2, 14, v2
	v_lshl_add_u64 v[6:7], v[6:7], 2, s[2:3]
	v_lshl_add_u64 v[8:9], v[8:9], 2, s[2:3]
	;; [unrolled: 1-line block ×7, first 2 shown]
	s_clause 0x7
	global_load_b64 v[22:23], v[18:19], off
	global_load_b64 v[24:25], v[6:7], off
	global_load_b64 v[26:27], v[8:9], off
	global_load_b64 v[28:29], v[10:11], off
	global_load_b64 v[30:31], v[12:13], off
	global_load_b64 v[32:33], v[14:15], off
	global_load_b64 v[34:35], v[16:17], off
	global_load_b64 v[36:37], v[20:21], off
	s_add_co_i32 s10, s10, 16
	s_delay_alu instid0(SALU_CYCLE_1)
	v_dual_add_nc_u32 v4, -8, v4 :: v_dual_mov_b32 v2, s10
	s_wait_loadcnt 0x7
	ds_store_2addr_b32 v5, v22, v23 offset1:1
	s_wait_loadcnt 0x6
	ds_store_2addr_b32 v5, v24, v25 offset0:2 offset1:3
	s_wait_loadcnt 0x5
	ds_store_2addr_b32 v5, v26, v27 offset0:4 offset1:5
	;; [unrolled: 2-line block ×7, first 2 shown]
	v_cmp_eq_u32_e32 vcc_lo, 0, v4
	v_add_nc_u32_e32 v5, 64, v5
	s_or_b32 s9, vcc_lo, s9
	s_wait_xcnt 0x0
	s_and_not1_b32 exec_lo, exec_lo, s9
	s_cbranch_execnz .LBB0_4
; %bb.5:
	s_or_b32 exec_lo, exec_lo, s9
.LBB0_6:
	s_delay_alu instid0(SALU_CYCLE_1) | instskip(NEXT) | instid1(VALU_DEP_1)
	s_or_b32 exec_lo, exec_lo, s8
	v_and_b32_e32 v1, 7, v1
	s_mov_b32 s9, 0
	s_mov_b32 s8, exec_lo
	s_delay_alu instid0(VALU_DEP_1)
	v_cmpx_ne_u32_e32 0, v1
	s_cbranch_execz .LBB0_9
; %bb.7:
	v_dual_add_nc_u32 v2, v0, v2 :: v_dual_lshlrev_b32 v1, 2, v1
	s_delay_alu instid0(VALU_DEP_1)
	v_dual_mov_b32 v3, 0 :: v_dual_lshlrev_b32 v4, 2, v2
.LBB0_8:                                ; =>This Inner Loop Header: Depth=1
	s_delay_alu instid0(VALU_DEP_1) | instskip(NEXT) | instid1(VALU_DEP_3)
	v_lshl_add_u64 v[6:7], v[2:3], 2, s[2:3]
	v_dual_add_nc_u32 v1, -4, v1 :: v_dual_add_nc_u32 v2, 2, v2
	global_load_b64 v[6:7], v[6:7], off
	v_cmp_eq_u32_e32 vcc_lo, 0, v1
	s_or_b32 s9, vcc_lo, s9
	s_wait_loadcnt 0x0
	ds_store_2addr_b32 v4, v6, v7 offset1:1
	v_add_nc_u32_e32 v4, 8, v4
	s_and_not1_b32 exec_lo, exec_lo, s9
	s_cbranch_execnz .LBB0_8
.LBB0_9:
	s_or_b32 exec_lo, exec_lo, s8
	v_sub_nc_u32_e32 v1, 0x100, v0
	s_delay_alu instid0(VALU_DEP_1) | instskip(NEXT) | instid1(VALU_DEP_1)
	v_and_b32_e32 v2, 0x1fe, v1
	v_cmp_ne_u32_e32 vcc_lo, v1, v2
	v_add_nc_u32_e32 v1, v0, v2
	s_or_not1_b32 s8, vcc_lo, exec_lo
.LBB0_10:
	s_or_b32 exec_lo, exec_lo, s7
	s_delay_alu instid0(SALU_CYCLE_1)
	s_and_b32 exec_lo, exec_lo, s8
	s_cbranch_execz .LBB0_13
; %bb.11:
	v_dual_mov_b32 v3, 0 :: v_dual_lshlrev_b32 v2, 2, v1
	s_delay_alu instid0(VALU_DEP_1)
	v_add_nc_u64_e32 v[4:5], s[2:3], v[2:3]
	s_mov_b32 s3, 0
	s_lshl_b32 s2, s6, 2
	s_mov_b32 s7, s3
.LBB0_12:                               ; =>This Inner Loop Header: Depth=1
	global_load_b32 v3, v[4:5], off
	v_add_nc_u32_e32 v1, s6, v1
	s_wait_xcnt 0x0
	v_add_nc_u64_e32 v[4:5], s[2:3], v[4:5]
	s_wait_loadcnt 0x0
	ds_store_b32 v2, v3
	v_add_nc_u32_e32 v2, s2, v2
	v_cmp_lt_u32_e32 vcc_lo, 0xff, v1
	s_or_b32 s7, vcc_lo, s7
	s_delay_alu instid0(SALU_CYCLE_1)
	s_and_not1_b32 exec_lo, exec_lo, s7
	s_cbranch_execnz .LBB0_12
.LBB0_13:
	s_or_b32 exec_lo, exec_lo, s5
	s_load_b32 s12, s[0:1], 0x18
	s_bfe_u32 s2, ttmp6, 0x4000c
	s_and_b32 s3, ttmp6, 15
	s_add_co_i32 s2, s2, 1
	s_getreg_b32 s5, hwreg(HW_REG_IB_STS2, 6, 4)
	s_mul_i32 s2, ttmp9, s2
	s_delay_alu instid0(SALU_CYCLE_1) | instskip(SKIP_2) | instid1(SALU_CYCLE_1)
	s_add_co_i32 s3, s3, s2
	s_cmp_eq_u32 s5, 0
	s_cselect_b32 s2, ttmp9, s3
	s_lshl_b32 s6, s2, 8
	s_wait_kmcnt 0x0
	s_cmp_le_i32 s12, s6
	s_cbranch_scc1 .LBB0_72
; %bb.14:
	s_load_b128 s[16:19], s[0:1], 0x8
	v_dual_mov_b32 v5, 0 :: v_dual_lshlrev_b32 v4, 2, v0
	s_ashr_i32 s7, s6, 31
	v_lshlrev_b32_e32 v0, 4, v0
	s_wait_xcnt 0x0
	s_lshl_b64 s[0:1], s[6:7], 2
	v_mov_b32_e32 v1, v5
	s_lshl_b32 s8, s4, 8
	v_or_b32_e32 v12, 1, v4
	v_or_b32_e32 v13, 2, v4
	;; [unrolled: 1-line block ×3, first 2 shown]
	v_mov_b32_e32 v15, 0xff
	s_ashr_i32 s9, s8, 31
	s_delay_alu instid0(SALU_CYCLE_1)
	s_lshl_b64 s[10:11], s[8:9], 2
	s_wait_kmcnt 0x0
	s_add_nc_u64 s[0:1], s[16:17], s[0:1]
	s_add_nc_u64 s[2:3], s[18:19], s[6:7]
	v_add_nc_u64_e32 v[2:3], s[0:1], v[0:1]
	v_add_nc_u64_e32 v[8:9], s[2:3], v[4:5]
	v_mov_b32_e32 v0, v5
	s_sub_co_i32 s7, s12, s6
	s_delay_alu instid0(VALU_DEP_3) | instskip(NEXT) | instid1(VALU_DEP_3)
	v_add_nc_u64_e32 v[6:7], 8, v[2:3]
	v_add_nc_u64_e32 v[8:9], 1, v[8:9]
	v_dual_mov_b32 v2, v5 :: v_dual_mov_b32 v3, v5
	s_branch .LBB0_16
.LBB0_15:                               ;   in Loop: Header=BB0_16 Depth=1
	s_wait_xcnt 0x0
	s_or_b32 exec_lo, exec_lo, s0
	v_add_nc_u64_e32 v[6:7], s[10:11], v[6:7]
	v_add_nc_u64_e32 v[8:9], s[8:9], v[8:9]
	s_add_co_i32 s6, s6, s8
	s_sub_co_i32 s7, s7, s8
	s_cmp_ge_i32 s6, s12
	s_cbranch_scc1 .LBB0_72
.LBB0_16:                               ; =>This Inner Loop Header: Depth=1
	s_min_i32 s2, s7, 0x100
	s_delay_alu instid0(SALU_CYCLE_1)
	v_cmp_gt_u32_e32 vcc_lo, s2, v4
	s_and_saveexec_b32 s0, vcc_lo
	s_cbranch_execnz .LBB0_63
; %bb.17:                               ;   in Loop: Header=BB0_16 Depth=1
	s_or_b32 exec_lo, exec_lo, s0
	v_cmp_gt_i32_e64 s0, s2, v12
	s_and_saveexec_b32 s1, s0
	s_cbranch_execnz .LBB0_64
.LBB0_18:                               ;   in Loop: Header=BB0_16 Depth=1
	s_or_b32 exec_lo, exec_lo, s1
	v_cmp_gt_i32_e64 s1, s2, v13
	s_and_saveexec_b32 s3, s1
	s_cbranch_execnz .LBB0_65
.LBB0_19:                               ;   in Loop: Header=BB0_16 Depth=1
	s_or_b32 exec_lo, exec_lo, s3
	v_cmp_gt_i32_e64 s2, s2, v14
	s_and_saveexec_b32 s3, s2
	s_cbranch_execz .LBB0_21
.LBB0_20:                               ;   in Loop: Header=BB0_16 Depth=1
	global_load_b32 v3, v[6:7], off offset:4
.LBB0_21:                               ;   in Loop: Header=BB0_16 Depth=1
	s_wait_xcnt 0x0
	s_or_b32 exec_lo, exec_lo, s3
	s_wait_loadcnt_dscnt 0x0
	s_barrier_signal -1
	s_barrier_wait -1
	ds_load_2addr_b32 v[10:11], v5 offset1:127
	s_mov_b32 s13, exec_lo
	v_mov_b32_e32 v21, -16
	s_wait_dscnt 0x0
	v_cmp_gt_f32_e64 s3, v0, v11
	s_delay_alu instid0(VALU_DEP_1) | instskip(SKIP_2) | instid1(VALU_DEP_3)
	v_cndmask_b32_e64 v22, 63, 0xbf, s3
	v_cndmask_b32_e64 v25, -1.0, v11, s3
	v_cndmask_b32_e64 v18, 0, 0x7f, s3
	v_lshlrev_b32_e32 v16, 2, v22
	ds_load_b32 v24, v16
	s_wait_dscnt 0x0
	v_cmp_gt_f32_e64 s4, v0, v24
	s_delay_alu instid0(VALU_DEP_1) | instskip(SKIP_1) | instid1(VALU_DEP_2)
	v_cndmask_b32_e64 v20, 0xffffffe0, 32, s4
	v_dual_cndmask_b32 v23, v18, v22, s4 :: v_dual_cndmask_b32 v25, v25, v24, s4
	v_lshl_add_u32 v19, v20, 2, v16
	ds_load_b32 v17, v19
	ds_load_b32 v16, v5 offset:1020
	v_add_nc_u32_e32 v20, v20, v22
	s_delay_alu instid0(VALU_DEP_1)
	v_mov_b32_e32 v18, v20
	s_wait_dscnt 0x1
	v_cmpx_gt_f32_e32 v0, v17
; %bb.22:                               ;   in Loop: Header=BB0_16 Depth=1
	v_cndmask_b32_e64 v18, v11, 1.0, s3
	v_cndmask_b32_e64 v21, 0x7f, v15, s3
	v_mov_b32_e32 v23, v20
	s_delay_alu instid0(VALU_DEP_2) | instskip(SKIP_1) | instid1(VALU_DEP_2)
	v_dual_cndmask_b32 v24, v24, v18, s4 :: v_dual_cndmask_b32 v18, v22, v21, s4
	v_dual_mov_b32 v21, 16 :: v_dual_mov_b32 v25, v17
	v_mov_b32_e32 v17, v24
; %bb.23:                               ;   in Loop: Header=BB0_16 Depth=1
	s_or_b32 exec_lo, exec_lo, s13
	s_delay_alu instid0(VALU_DEP_2)
	v_lshl_add_u32 v19, v21, 2, v19
	v_add_nc_u32_e32 v27, v21, v20
	s_mov_b32 s5, exec_lo
	ds_load_b32 v26, v19
	s_wait_dscnt 0x0
	v_cmp_gt_f32_e64 s3, v0, v26
	s_delay_alu instid0(VALU_DEP_1) | instskip(NEXT) | instid1(VALU_DEP_1)
	v_cndmask_b32_e64 v24, -8, 8, s3
	v_lshl_add_u32 v22, v24, 2, v19
	v_dual_add_nc_u32 v20, v24, v27 :: v_dual_mov_b32 v24, -4
	v_dual_cndmask_b32 v23, v23, v27, s3 :: v_dual_cndmask_b32 v25, v25, v26, s3
	ds_load_b32 v19, v22
	v_mov_b32_e32 v21, v20
	s_wait_dscnt 0x0
	v_cmpx_gt_f32_e32 v0, v19
; %bb.24:                               ;   in Loop: Header=BB0_16 Depth=1
	v_dual_cndmask_b32 v17, v26, v17, s3 :: v_dual_cndmask_b32 v21, v27, v18, s3
	v_dual_mov_b32 v24, 4 :: v_dual_mov_b32 v23, v20
	s_delay_alu instid0(VALU_DEP_2)
	v_dual_mov_b32 v25, v19 :: v_dual_mov_b32 v19, v17
; %bb.25:                               ;   in Loop: Header=BB0_16 Depth=1
	s_or_b32 exec_lo, exec_lo, s5
	s_delay_alu instid0(VALU_DEP_2)
	v_lshl_add_u32 v17, v24, 2, v22
	v_dual_add_nc_u32 v28, v24, v20 :: v_dual_mov_b32 v26, -1
	s_mov_b32 s5, exec_lo
	ds_load_b32 v27, v17
	s_wait_dscnt 0x0
	v_cmp_gt_f32_e64 s3, v0, v27
	s_delay_alu instid0(VALU_DEP_1) | instskip(NEXT) | instid1(VALU_DEP_1)
	v_cndmask_b32_e64 v22, -2, 2, s3
	v_lshl_add_u32 v17, v22, 2, v17
	v_dual_add_nc_u32 v24, v22, v28 :: v_dual_cndmask_b32 v22, v23, v28, s3
	v_cndmask_b32_e64 v23, v25, v27, s3
	ds_load_b32 v18, v17
	v_mov_b32_e32 v20, v24
	s_wait_dscnt 0x0
	v_cmpx_gt_f32_e32 v0, v18
; %bb.26:                               ;   in Loop: Header=BB0_16 Depth=1
	v_dual_cndmask_b32 v19, v27, v19, s3 :: v_dual_cndmask_b32 v20, v28, v21, s3
	v_dual_mov_b32 v26, 1 :: v_dual_mov_b32 v22, v24
	s_delay_alu instid0(VALU_DEP_2)
	v_dual_mov_b32 v23, v18 :: v_dual_mov_b32 v18, v19
; %bb.27:                               ;   in Loop: Header=BB0_16 Depth=1
	s_or_b32 exec_lo, exec_lo, s5
	s_delay_alu instid0(VALU_DEP_2)
	v_lshl_add_u32 v17, v26, 2, v17
	v_add_nc_u32_e32 v19, v26, v24
	s_mov_b32 s4, exec_lo
	ds_load_b32 v21, v17
                                        ; implicit-def: $vgpr17
	s_wait_dscnt 0x0
	v_cmpx_ngt_f32_e32 v0, v21
	s_xor_b32 s4, exec_lo, s4
; %bb.28:                               ;   in Loop: Header=BB0_16 Depth=1
	v_cmp_eq_u32_e64 s3, 0, v22
                                        ; implicit-def: $vgpr20
                                        ; implicit-def: $vgpr18
	s_delay_alu instid0(VALU_DEP_1) | instskip(NEXT) | instid1(VALU_DEP_1)
	v_cndmask_b32_e64 v17, v23, v10, s3
	v_add_f32_e32 v17, v21, v17
                                        ; implicit-def: $vgpr21
	s_delay_alu instid0(VALU_DEP_1) | instskip(NEXT) | instid1(VALU_DEP_1)
	v_mul_f32_e32 v17, 0.5, v17
	v_cmp_lt_f32_e64 s3, v0, v17
	s_delay_alu instid0(VALU_DEP_1)
	v_cndmask_b32_e64 v17, v19, v22, s3
                                        ; implicit-def: $vgpr19
; %bb.29:                               ;   in Loop: Header=BB0_16 Depth=1
	s_and_not1_saveexec_b32 s4, s4
; %bb.30:                               ;   in Loop: Header=BB0_16 Depth=1
	v_cmp_eq_u32_e64 s3, 0xff, v20
	s_delay_alu instid0(VALU_DEP_1) | instskip(NEXT) | instid1(VALU_DEP_1)
	v_cndmask_b32_e64 v17, v18, v16, s3
	v_add_f32_e32 v17, v21, v17
	s_delay_alu instid0(VALU_DEP_1) | instskip(NEXT) | instid1(VALU_DEP_1)
	v_mul_f32_e32 v17, 0.5, v17
	v_cmp_gt_f32_e64 s3, v0, v17
	s_delay_alu instid0(VALU_DEP_1)
	v_cndmask_b32_e64 v17, v19, v20, s3
; %bb.31:                               ;   in Loop: Header=BB0_16 Depth=1
	s_or_b32 exec_lo, exec_lo, s4
	v_cmp_gt_f32_e64 s3, v1, v11
	s_mov_b32 s13, exec_lo
	v_dual_mov_b32 v22, -16 :: v_dual_cndmask_b32 v26, -1.0, v11, s3
	v_cndmask_b32_e64 v23, 63, 0xbf, s3
	v_cndmask_b32_e64 v19, 0, 0x7f, s3
	s_delay_alu instid0(VALU_DEP_2) | instskip(SKIP_3) | instid1(VALU_DEP_1)
	v_lshlrev_b32_e32 v18, 2, v23
	ds_load_b32 v25, v18
	s_wait_dscnt 0x0
	v_cmp_gt_f32_e64 s4, v1, v25
	v_cndmask_b32_e64 v21, 0xffffffe0, 32, s4
	v_dual_cndmask_b32 v24, v19, v23, s4 :: v_dual_cndmask_b32 v26, v26, v25, s4
	s_delay_alu instid0(VALU_DEP_2)
	v_lshl_add_u32 v20, v21, 2, v18
	v_add_nc_u32_e32 v21, v21, v23
	ds_load_b32 v18, v20
	v_mov_b32_e32 v19, v21
	s_wait_dscnt 0x0
	v_cmpx_gt_f32_e32 v1, v18
; %bb.32:                               ;   in Loop: Header=BB0_16 Depth=1
	v_cndmask_b32_e64 v19, v11, 1.0, s3
	v_cndmask_b32_e64 v22, 0x7f, v15, s3
	v_mov_b32_e32 v24, v21
	s_delay_alu instid0(VALU_DEP_2) | instskip(SKIP_1) | instid1(VALU_DEP_2)
	v_dual_cndmask_b32 v25, v25, v19, s4 :: v_dual_cndmask_b32 v19, v23, v22, s4
	v_dual_mov_b32 v22, 16 :: v_dual_mov_b32 v26, v18
	v_mov_b32_e32 v18, v25
; %bb.33:                               ;   in Loop: Header=BB0_16 Depth=1
	s_or_b32 exec_lo, exec_lo, s13
	s_delay_alu instid0(VALU_DEP_2)
	v_lshl_add_u32 v20, v22, 2, v20
	v_add_nc_u32_e32 v28, v22, v21
	s_mov_b32 s5, exec_lo
	ds_load_b32 v27, v20
	s_wait_dscnt 0x0
	v_cmp_gt_f32_e64 s3, v1, v27
	s_delay_alu instid0(VALU_DEP_1) | instskip(NEXT) | instid1(VALU_DEP_1)
	v_cndmask_b32_e64 v25, -8, 8, s3
	v_lshl_add_u32 v23, v25, 2, v20
	v_dual_add_nc_u32 v21, v25, v28 :: v_dual_mov_b32 v25, -4
	v_dual_cndmask_b32 v24, v24, v28, s3 :: v_dual_cndmask_b32 v26, v26, v27, s3
	ds_load_b32 v20, v23
	v_mov_b32_e32 v22, v21
	s_wait_dscnt 0x0
	v_cmpx_gt_f32_e32 v1, v20
; %bb.34:                               ;   in Loop: Header=BB0_16 Depth=1
	v_dual_cndmask_b32 v18, v27, v18, s3 :: v_dual_cndmask_b32 v22, v28, v19, s3
	v_dual_mov_b32 v25, 4 :: v_dual_mov_b32 v24, v21
	s_delay_alu instid0(VALU_DEP_2)
	v_dual_mov_b32 v26, v20 :: v_dual_mov_b32 v20, v18
; %bb.35:                               ;   in Loop: Header=BB0_16 Depth=1
	s_or_b32 exec_lo, exec_lo, s5
	s_delay_alu instid0(VALU_DEP_2)
	v_lshl_add_u32 v18, v25, 2, v23
	v_dual_add_nc_u32 v29, v25, v21 :: v_dual_mov_b32 v27, -1
	s_mov_b32 s5, exec_lo
	ds_load_b32 v28, v18
	s_wait_dscnt 0x0
	v_cmp_gt_f32_e64 s3, v1, v28
	s_delay_alu instid0(VALU_DEP_1) | instskip(NEXT) | instid1(VALU_DEP_1)
	v_cndmask_b32_e64 v23, -2, 2, s3
	v_lshl_add_u32 v18, v23, 2, v18
	v_dual_add_nc_u32 v25, v23, v29 :: v_dual_cndmask_b32 v23, v24, v29, s3
	v_cndmask_b32_e64 v24, v26, v28, s3
	ds_load_b32 v19, v18
	v_mov_b32_e32 v21, v25
	s_wait_dscnt 0x0
	v_cmpx_gt_f32_e32 v1, v19
; %bb.36:                               ;   in Loop: Header=BB0_16 Depth=1
	v_dual_cndmask_b32 v20, v28, v20, s3 :: v_dual_cndmask_b32 v21, v29, v22, s3
	v_dual_mov_b32 v27, 1 :: v_dual_mov_b32 v23, v25
	s_delay_alu instid0(VALU_DEP_2)
	v_dual_mov_b32 v24, v19 :: v_dual_mov_b32 v19, v20
; %bb.37:                               ;   in Loop: Header=BB0_16 Depth=1
	s_or_b32 exec_lo, exec_lo, s5
	s_delay_alu instid0(VALU_DEP_2)
	v_lshl_add_u32 v18, v27, 2, v18
	v_add_nc_u32_e32 v20, v27, v25
	s_mov_b32 s4, exec_lo
	ds_load_b32 v22, v18
                                        ; implicit-def: $vgpr18
	s_wait_dscnt 0x0
	v_cmpx_ngt_f32_e32 v1, v22
	s_xor_b32 s4, exec_lo, s4
; %bb.38:                               ;   in Loop: Header=BB0_16 Depth=1
	v_cmp_eq_u32_e64 s3, 0, v23
                                        ; implicit-def: $vgpr21
                                        ; implicit-def: $vgpr19
	s_delay_alu instid0(VALU_DEP_1) | instskip(NEXT) | instid1(VALU_DEP_1)
	v_cndmask_b32_e64 v18, v24, v10, s3
	v_add_f32_e32 v18, v22, v18
                                        ; implicit-def: $vgpr22
	s_delay_alu instid0(VALU_DEP_1) | instskip(NEXT) | instid1(VALU_DEP_1)
	v_mul_f32_e32 v18, 0.5, v18
	v_cmp_lt_f32_e64 s3, v1, v18
	s_delay_alu instid0(VALU_DEP_1)
	v_cndmask_b32_e64 v18, v20, v23, s3
                                        ; implicit-def: $vgpr20
; %bb.39:                               ;   in Loop: Header=BB0_16 Depth=1
	s_and_not1_saveexec_b32 s4, s4
; %bb.40:                               ;   in Loop: Header=BB0_16 Depth=1
	v_cmp_eq_u32_e64 s3, 0xff, v21
	s_delay_alu instid0(VALU_DEP_1) | instskip(NEXT) | instid1(VALU_DEP_1)
	v_cndmask_b32_e64 v18, v19, v16, s3
	v_add_f32_e32 v18, v22, v18
	s_delay_alu instid0(VALU_DEP_1) | instskip(NEXT) | instid1(VALU_DEP_1)
	v_mul_f32_e32 v18, 0.5, v18
	v_cmp_gt_f32_e64 s3, v1, v18
	s_delay_alu instid0(VALU_DEP_1)
	v_cndmask_b32_e64 v18, v20, v21, s3
; %bb.41:                               ;   in Loop: Header=BB0_16 Depth=1
	s_or_b32 exec_lo, exec_lo, s4
	v_cmp_gt_f32_e64 s3, v2, v11
	s_mov_b32 s13, exec_lo
	v_mov_b32_e32 v23, -16
	v_cndmask_b32_e64 v24, 63, 0xbf, s3
	v_cndmask_b32_e64 v27, -1.0, v11, s3
	v_cndmask_b32_e64 v20, 0, 0x7f, s3
	s_delay_alu instid0(VALU_DEP_3) | instskip(SKIP_3) | instid1(VALU_DEP_1)
	v_lshlrev_b32_e32 v19, 2, v24
	ds_load_b32 v26, v19
	s_wait_dscnt 0x0
	v_cmp_gt_f32_e64 s4, v2, v26
	v_cndmask_b32_e64 v22, 0xffffffe0, 32, s4
	v_dual_cndmask_b32 v25, v20, v24, s4 :: v_dual_cndmask_b32 v27, v27, v26, s4
	s_delay_alu instid0(VALU_DEP_2)
	v_lshl_add_u32 v21, v22, 2, v19
	v_add_nc_u32_e32 v22, v22, v24
	ds_load_b32 v19, v21
	v_mov_b32_e32 v20, v22
	s_wait_dscnt 0x0
	v_cmpx_gt_f32_e32 v2, v19
; %bb.42:                               ;   in Loop: Header=BB0_16 Depth=1
	v_cndmask_b32_e64 v20, v11, 1.0, s3
	v_cndmask_b32_e64 v23, 0x7f, v15, s3
	v_mov_b32_e32 v25, v22
	s_delay_alu instid0(VALU_DEP_2) | instskip(SKIP_1) | instid1(VALU_DEP_2)
	v_dual_cndmask_b32 v26, v26, v20, s4 :: v_dual_cndmask_b32 v20, v24, v23, s4
	v_dual_mov_b32 v23, 16 :: v_dual_mov_b32 v27, v19
	v_mov_b32_e32 v19, v26
; %bb.43:                               ;   in Loop: Header=BB0_16 Depth=1
	s_or_b32 exec_lo, exec_lo, s13
	s_delay_alu instid0(VALU_DEP_2)
	v_lshl_add_u32 v21, v23, 2, v21
	v_add_nc_u32_e32 v29, v23, v22
	s_mov_b32 s5, exec_lo
	ds_load_b32 v28, v21
	s_wait_dscnt 0x0
	v_cmp_gt_f32_e64 s3, v2, v28
	s_delay_alu instid0(VALU_DEP_1) | instskip(NEXT) | instid1(VALU_DEP_1)
	v_cndmask_b32_e64 v26, -8, 8, s3
	v_lshl_add_u32 v24, v26, 2, v21
	v_dual_add_nc_u32 v22, v26, v29 :: v_dual_mov_b32 v26, -4
	v_dual_cndmask_b32 v25, v25, v29, s3 :: v_dual_cndmask_b32 v27, v27, v28, s3
	ds_load_b32 v21, v24
	v_mov_b32_e32 v23, v22
	s_wait_dscnt 0x0
	v_cmpx_gt_f32_e32 v2, v21
; %bb.44:                               ;   in Loop: Header=BB0_16 Depth=1
	v_dual_cndmask_b32 v19, v28, v19, s3 :: v_dual_cndmask_b32 v23, v29, v20, s3
	v_dual_mov_b32 v26, 4 :: v_dual_mov_b32 v25, v22
	s_delay_alu instid0(VALU_DEP_2)
	v_dual_mov_b32 v27, v21 :: v_dual_mov_b32 v21, v19
; %bb.45:                               ;   in Loop: Header=BB0_16 Depth=1
	s_or_b32 exec_lo, exec_lo, s5
	s_delay_alu instid0(VALU_DEP_2)
	v_lshl_add_u32 v19, v26, 2, v24
	v_dual_add_nc_u32 v30, v26, v22 :: v_dual_mov_b32 v28, -1
	s_mov_b32 s5, exec_lo
	ds_load_b32 v29, v19
	s_wait_dscnt 0x0
	v_cmp_gt_f32_e64 s3, v2, v29
	s_delay_alu instid0(VALU_DEP_1) | instskip(NEXT) | instid1(VALU_DEP_1)
	v_cndmask_b32_e64 v24, -2, 2, s3
	v_lshl_add_u32 v19, v24, 2, v19
	v_dual_add_nc_u32 v26, v24, v30 :: v_dual_cndmask_b32 v24, v25, v30, s3
	v_cndmask_b32_e64 v25, v27, v29, s3
	ds_load_b32 v20, v19
	v_mov_b32_e32 v22, v26
	s_wait_dscnt 0x0
	v_cmpx_gt_f32_e32 v2, v20
; %bb.46:                               ;   in Loop: Header=BB0_16 Depth=1
	v_dual_cndmask_b32 v21, v29, v21, s3 :: v_dual_cndmask_b32 v22, v30, v23, s3
	v_dual_mov_b32 v28, 1 :: v_dual_mov_b32 v24, v26
	s_delay_alu instid0(VALU_DEP_2)
	v_dual_mov_b32 v25, v20 :: v_dual_mov_b32 v20, v21
; %bb.47:                               ;   in Loop: Header=BB0_16 Depth=1
	s_or_b32 exec_lo, exec_lo, s5
	s_delay_alu instid0(VALU_DEP_2)
	v_lshl_add_u32 v19, v28, 2, v19
	v_add_nc_u32_e32 v21, v28, v26
	s_mov_b32 s4, exec_lo
	ds_load_b32 v23, v19
                                        ; implicit-def: $vgpr19
	s_wait_dscnt 0x0
	v_cmpx_ngt_f32_e32 v2, v23
	s_xor_b32 s4, exec_lo, s4
; %bb.48:                               ;   in Loop: Header=BB0_16 Depth=1
	v_cmp_eq_u32_e64 s3, 0, v24
                                        ; implicit-def: $vgpr22
                                        ; implicit-def: $vgpr20
	s_delay_alu instid0(VALU_DEP_1) | instskip(NEXT) | instid1(VALU_DEP_1)
	v_cndmask_b32_e64 v19, v25, v10, s3
	v_add_f32_e32 v19, v23, v19
                                        ; implicit-def: $vgpr23
	s_delay_alu instid0(VALU_DEP_1) | instskip(NEXT) | instid1(VALU_DEP_1)
	v_mul_f32_e32 v19, 0.5, v19
	v_cmp_lt_f32_e64 s3, v2, v19
	s_delay_alu instid0(VALU_DEP_1)
	v_cndmask_b32_e64 v19, v21, v24, s3
                                        ; implicit-def: $vgpr21
; %bb.49:                               ;   in Loop: Header=BB0_16 Depth=1
	s_and_not1_saveexec_b32 s4, s4
; %bb.50:                               ;   in Loop: Header=BB0_16 Depth=1
	v_cmp_eq_u32_e64 s3, 0xff, v22
	s_delay_alu instid0(VALU_DEP_1) | instskip(NEXT) | instid1(VALU_DEP_1)
	v_cndmask_b32_e64 v19, v20, v16, s3
	v_add_f32_e32 v19, v23, v19
	s_delay_alu instid0(VALU_DEP_1) | instskip(NEXT) | instid1(VALU_DEP_1)
	v_mul_f32_e32 v19, 0.5, v19
	v_cmp_gt_f32_e64 s3, v2, v19
	s_delay_alu instid0(VALU_DEP_1)
	v_cndmask_b32_e64 v19, v21, v22, s3
; %bb.51:                               ;   in Loop: Header=BB0_16 Depth=1
	s_or_b32 exec_lo, exec_lo, s4
	v_cmp_gt_f32_e64 s3, v3, v11
	s_mov_b32 s13, exec_lo
	v_mov_b32_e32 v25, -16
	v_cndmask_b32_e64 v24, 63, 0xbf, s3
	v_cndmask_b32_e64 v28, -1.0, v11, s3
	v_cndmask_b32_e64 v21, 0, 0x7f, s3
	s_delay_alu instid0(VALU_DEP_3) | instskip(SKIP_3) | instid1(VALU_DEP_1)
	v_lshlrev_b32_e32 v20, 2, v24
	ds_load_b32 v27, v20
	s_wait_dscnt 0x0
	v_cmp_gt_f32_e64 s4, v3, v27
	v_cndmask_b32_e64 v22, 0xffffffe0, 32, s4
	v_dual_cndmask_b32 v26, v21, v24, s4 :: v_dual_cndmask_b32 v28, v28, v27, s4
	s_delay_alu instid0(VALU_DEP_2)
	v_lshl_add_u32 v23, v22, 2, v20
	v_add_nc_u32_e32 v22, v22, v24
	ds_load_b32 v20, v23
	v_mov_b32_e32 v21, v22
	s_wait_dscnt 0x0
	v_cmpx_gt_f32_e32 v3, v20
; %bb.52:                               ;   in Loop: Header=BB0_16 Depth=1
	v_cndmask_b32_e64 v11, v11, 1.0, s3
	v_cndmask_b32_e64 v21, 0x7f, v15, s3
	v_dual_mov_b32 v25, 16 :: v_dual_mov_b32 v26, v22
	s_delay_alu instid0(VALU_DEP_2) | instskip(NEXT) | instid1(VALU_DEP_1)
	v_dual_cndmask_b32 v11, v27, v11, s4 :: v_dual_cndmask_b32 v21, v24, v21, s4
	v_dual_mov_b32 v28, v20 :: v_dual_mov_b32 v20, v11
; %bb.53:                               ;   in Loop: Header=BB0_16 Depth=1
	s_or_b32 exec_lo, exec_lo, s13
	s_delay_alu instid0(VALU_DEP_3)
	v_lshl_add_u32 v11, v25, 2, v23
	v_dual_add_nc_u32 v25, v25, v22 :: v_dual_mov_b32 v27, -4
	s_mov_b32 s5, exec_lo
	ds_load_b32 v29, v11
	s_wait_dscnt 0x0
	v_cmp_gt_f32_e64 s3, v3, v29
	s_delay_alu instid0(VALU_DEP_1) | instskip(SKIP_1) | instid1(VALU_DEP_2)
	v_cndmask_b32_e64 v23, -8, 8, s3
	v_cndmask_b32_e64 v26, v26, v25, s3
	v_lshl_add_u32 v24, v23, 2, v11
	v_add_nc_u32_e32 v23, v23, v25
	v_cndmask_b32_e64 v28, v28, v29, s3
	ds_load_b32 v11, v24
	v_mov_b32_e32 v22, v23
	s_wait_dscnt 0x0
	v_cmpx_gt_f32_e32 v3, v11
; %bb.54:                               ;   in Loop: Header=BB0_16 Depth=1
	v_dual_cndmask_b32 v20, v29, v20, s3 :: v_dual_mov_b32 v27, 4
	v_dual_cndmask_b32 v22, v25, v21, s3 :: v_dual_mov_b32 v26, v23
	s_delay_alu instid0(VALU_DEP_2)
	v_dual_mov_b32 v28, v11 :: v_dual_mov_b32 v11, v20
; %bb.55:                               ;   in Loop: Header=BB0_16 Depth=1
	s_or_b32 exec_lo, exec_lo, s5
	s_delay_alu instid0(VALU_DEP_3)
	v_lshl_add_u32 v20, v27, 2, v24
	v_dual_add_nc_u32 v31, v27, v23 :: v_dual_mov_b32 v29, -1
	s_mov_b32 s5, exec_lo
	ds_load_b32 v30, v20
	s_wait_dscnt 0x0
	v_cmp_gt_f32_e64 s3, v3, v30
	s_delay_alu instid0(VALU_DEP_1) | instskip(NEXT) | instid1(VALU_DEP_1)
	v_cndmask_b32_e64 v21, -2, 2, s3
	v_dual_cndmask_b32 v23, v26, v31, s3 :: v_dual_add_nc_u32 v27, v21, v31
	v_lshl_add_u32 v25, v21, 2, v20
	s_delay_alu instid0(VALU_DEP_2)
	v_dual_cndmask_b32 v24, v28, v30, s3 :: v_dual_mov_b32 v21, v27
	ds_load_b32 v20, v25
	s_wait_dscnt 0x0
	v_cmpx_gt_f32_e32 v3, v20
; %bb.56:                               ;   in Loop: Header=BB0_16 Depth=1
	v_dual_cndmask_b32 v11, v30, v11, s3 :: v_dual_cndmask_b32 v21, v31, v22, s3
	v_dual_mov_b32 v29, 1 :: v_dual_mov_b32 v23, v27
	s_delay_alu instid0(VALU_DEP_2)
	v_dual_mov_b32 v24, v20 :: v_dual_mov_b32 v20, v11
; %bb.57:                               ;   in Loop: Header=BB0_16 Depth=1
	s_or_b32 exec_lo, exec_lo, s5
	s_delay_alu instid0(VALU_DEP_2)
	v_lshl_add_u32 v11, v29, 2, v25
	v_add_nc_u32_e32 v22, v29, v27
	s_mov_b32 s4, exec_lo
	ds_load_b32 v25, v11
                                        ; implicit-def: $vgpr11
	s_wait_dscnt 0x0
	v_cmpx_ngt_f32_e32 v3, v25
	s_xor_b32 s4, exec_lo, s4
	s_cbranch_execnz .LBB0_66
; %bb.58:                               ;   in Loop: Header=BB0_16 Depth=1
	s_and_not1_saveexec_b32 s4, s4
	s_cbranch_execnz .LBB0_67
.LBB0_59:                               ;   in Loop: Header=BB0_16 Depth=1
	s_or_b32 exec_lo, exec_lo, s4
	s_and_saveexec_b32 s3, vcc_lo
	s_delay_alu instid0(SALU_CYCLE_1)
	s_xor_b32 s3, exec_lo, s3
	s_cbranch_execnz .LBB0_68
.LBB0_60:                               ;   in Loop: Header=BB0_16 Depth=1
	s_or_b32 exec_lo, exec_lo, s3
	s_and_saveexec_b32 s3, s0
	s_cbranch_execnz .LBB0_69
.LBB0_61:                               ;   in Loop: Header=BB0_16 Depth=1
	s_or_b32 exec_lo, exec_lo, s3
	s_and_saveexec_b32 s0, s1
	s_cbranch_execnz .LBB0_70
.LBB0_62:                               ;   in Loop: Header=BB0_16 Depth=1
	s_or_b32 exec_lo, exec_lo, s0
	s_and_saveexec_b32 s0, s2
	s_cbranch_execz .LBB0_15
	s_branch .LBB0_71
.LBB0_63:                               ;   in Loop: Header=BB0_16 Depth=1
	global_load_b32 v0, v[6:7], off offset:-8
	s_wait_xcnt 0x0
	s_or_b32 exec_lo, exec_lo, s0
	v_cmp_gt_i32_e64 s0, s2, v12
	s_and_saveexec_b32 s1, s0
	s_cbranch_execz .LBB0_18
.LBB0_64:                               ;   in Loop: Header=BB0_16 Depth=1
	global_load_b32 v1, v[6:7], off offset:-4
	s_wait_xcnt 0x0
	s_or_b32 exec_lo, exec_lo, s1
	v_cmp_gt_i32_e64 s1, s2, v13
	s_and_saveexec_b32 s3, s1
	s_cbranch_execz .LBB0_19
.LBB0_65:                               ;   in Loop: Header=BB0_16 Depth=1
	global_load_b32 v2, v[6:7], off
	s_wait_xcnt 0x0
	s_or_b32 exec_lo, exec_lo, s3
	v_cmp_gt_i32_e64 s2, s2, v14
	s_and_saveexec_b32 s3, s2
	s_cbranch_execnz .LBB0_20
	s_branch .LBB0_21
.LBB0_66:                               ;   in Loop: Header=BB0_16 Depth=1
	v_cmp_eq_u32_e64 s3, 0, v23
                                        ; implicit-def: $vgpr21
                                        ; implicit-def: $vgpr20
                                        ; implicit-def: $vgpr16
	s_delay_alu instid0(VALU_DEP_1) | instskip(NEXT) | instid1(VALU_DEP_1)
	v_cndmask_b32_e64 v10, v24, v10, s3
	v_add_f32_e32 v10, v25, v10
                                        ; implicit-def: $vgpr25
	s_delay_alu instid0(VALU_DEP_1) | instskip(NEXT) | instid1(VALU_DEP_1)
	v_mul_f32_e32 v10, 0.5, v10
	v_cmp_lt_f32_e64 s3, v3, v10
	s_delay_alu instid0(VALU_DEP_1)
	v_cndmask_b32_e64 v11, v22, v23, s3
                                        ; implicit-def: $vgpr22
	s_and_not1_saveexec_b32 s4, s4
	s_cbranch_execz .LBB0_59
.LBB0_67:                               ;   in Loop: Header=BB0_16 Depth=1
	v_cmp_eq_u32_e64 s3, 0xff, v21
	s_delay_alu instid0(VALU_DEP_1) | instskip(NEXT) | instid1(VALU_DEP_1)
	v_cndmask_b32_e64 v10, v20, v16, s3
	v_add_f32_e32 v10, v25, v10
	s_delay_alu instid0(VALU_DEP_1) | instskip(NEXT) | instid1(VALU_DEP_1)
	v_mul_f32_e32 v10, 0.5, v10
	v_cmp_gt_f32_e64 s3, v3, v10
	s_delay_alu instid0(VALU_DEP_1) | instskip(SKIP_2) | instid1(SALU_CYCLE_1)
	v_cndmask_b32_e64 v11, v22, v21, s3
	s_or_b32 exec_lo, exec_lo, s4
	s_and_saveexec_b32 s3, vcc_lo
	s_xor_b32 s3, exec_lo, s3
	s_cbranch_execz .LBB0_60
.LBB0_68:                               ;   in Loop: Header=BB0_16 Depth=1
	global_store_b8 v[8:9], v17, off offset:-1
	s_wait_xcnt 0x0
	s_or_b32 exec_lo, exec_lo, s3
	s_and_saveexec_b32 s3, s0
	s_cbranch_execz .LBB0_61
.LBB0_69:                               ;   in Loop: Header=BB0_16 Depth=1
	global_store_b8 v[8:9], v18, off
	s_wait_xcnt 0x0
	s_or_b32 exec_lo, exec_lo, s3
	s_and_saveexec_b32 s0, s1
	s_cbranch_execz .LBB0_62
.LBB0_70:                               ;   in Loop: Header=BB0_16 Depth=1
	global_store_b8 v[8:9], v19, off offset:1
	s_wait_xcnt 0x0
	s_or_b32 exec_lo, exec_lo, s0
	s_and_saveexec_b32 s0, s2
	s_cbranch_execz .LBB0_15
.LBB0_71:                               ;   in Loop: Header=BB0_16 Depth=1
	global_store_b8 v[8:9], v11, off offset:2
	s_branch .LBB0_15
.LBB0_72:
	s_endpgm
	.section	.rodata,"a",@progbits
	.p2align	6, 0x0
	.amdhsa_kernel _Z9kQuantizeILi256ELi256EEvPKfS1_Phi
		.amdhsa_group_segment_fixed_size 1024
		.amdhsa_private_segment_fixed_size 0
		.amdhsa_kernarg_size 288
		.amdhsa_user_sgpr_count 2
		.amdhsa_user_sgpr_dispatch_ptr 0
		.amdhsa_user_sgpr_queue_ptr 0
		.amdhsa_user_sgpr_kernarg_segment_ptr 1
		.amdhsa_user_sgpr_dispatch_id 0
		.amdhsa_user_sgpr_kernarg_preload_length 0
		.amdhsa_user_sgpr_kernarg_preload_offset 0
		.amdhsa_user_sgpr_private_segment_size 0
		.amdhsa_wavefront_size32 1
		.amdhsa_uses_dynamic_stack 0
		.amdhsa_enable_private_segment 0
		.amdhsa_system_sgpr_workgroup_id_x 1
		.amdhsa_system_sgpr_workgroup_id_y 0
		.amdhsa_system_sgpr_workgroup_id_z 0
		.amdhsa_system_sgpr_workgroup_info 0
		.amdhsa_system_vgpr_workitem_id 0
		.amdhsa_next_free_vgpr 38
		.amdhsa_next_free_sgpr 20
		.amdhsa_named_barrier_count 0
		.amdhsa_reserve_vcc 1
		.amdhsa_float_round_mode_32 0
		.amdhsa_float_round_mode_16_64 0
		.amdhsa_float_denorm_mode_32 3
		.amdhsa_float_denorm_mode_16_64 3
		.amdhsa_fp16_overflow 0
		.amdhsa_memory_ordered 1
		.amdhsa_forward_progress 1
		.amdhsa_inst_pref_size 32
		.amdhsa_round_robin_scheduling 0
		.amdhsa_exception_fp_ieee_invalid_op 0
		.amdhsa_exception_fp_denorm_src 0
		.amdhsa_exception_fp_ieee_div_zero 0
		.amdhsa_exception_fp_ieee_overflow 0
		.amdhsa_exception_fp_ieee_underflow 0
		.amdhsa_exception_fp_ieee_inexact 0
		.amdhsa_exception_int_div_zero 0
	.end_amdhsa_kernel
	.section	.text._Z9kQuantizeILi256ELi256EEvPKfS1_Phi,"axG",@progbits,_Z9kQuantizeILi256ELi256EEvPKfS1_Phi,comdat
.Lfunc_end0:
	.size	_Z9kQuantizeILi256ELi256EEvPKfS1_Phi, .Lfunc_end0-_Z9kQuantizeILi256ELi256EEvPKfS1_Phi
                                        ; -- End function
	.set _Z9kQuantizeILi256ELi256EEvPKfS1_Phi.num_vgpr, 38
	.set _Z9kQuantizeILi256ELi256EEvPKfS1_Phi.num_agpr, 0
	.set _Z9kQuantizeILi256ELi256EEvPKfS1_Phi.numbered_sgpr, 20
	.set _Z9kQuantizeILi256ELi256EEvPKfS1_Phi.num_named_barrier, 0
	.set _Z9kQuantizeILi256ELi256EEvPKfS1_Phi.private_seg_size, 0
	.set _Z9kQuantizeILi256ELi256EEvPKfS1_Phi.uses_vcc, 1
	.set _Z9kQuantizeILi256ELi256EEvPKfS1_Phi.uses_flat_scratch, 0
	.set _Z9kQuantizeILi256ELi256EEvPKfS1_Phi.has_dyn_sized_stack, 0
	.set _Z9kQuantizeILi256ELi256EEvPKfS1_Phi.has_recursion, 0
	.set _Z9kQuantizeILi256ELi256EEvPKfS1_Phi.has_indirect_call, 0
	.section	.AMDGPU.csdata,"",@progbits
; Kernel info:
; codeLenInByte = 4076
; TotalNumSgprs: 22
; NumVgprs: 38
; ScratchSize: 0
; MemoryBound: 0
; FloatMode: 240
; IeeeMode: 1
; LDSByteSize: 1024 bytes/workgroup (compile time only)
; SGPRBlocks: 0
; VGPRBlocks: 2
; NumSGPRsForWavesPerEU: 22
; NumVGPRsForWavesPerEU: 38
; NamedBarCnt: 0
; Occupancy: 16
; WaveLimiterHint : 0
; COMPUTE_PGM_RSRC2:SCRATCH_EN: 0
; COMPUTE_PGM_RSRC2:USER_SGPR: 2
; COMPUTE_PGM_RSRC2:TRAP_HANDLER: 0
; COMPUTE_PGM_RSRC2:TGID_X_EN: 1
; COMPUTE_PGM_RSRC2:TGID_Y_EN: 0
; COMPUTE_PGM_RSRC2:TGID_Z_EN: 0
; COMPUTE_PGM_RSRC2:TIDIG_COMP_CNT: 0
	.section	.AMDGPU.gpr_maximums,"",@progbits
	.set amdgpu.max_num_vgpr, 0
	.set amdgpu.max_num_agpr, 0
	.set amdgpu.max_num_sgpr, 0
	.section	.AMDGPU.csdata,"",@progbits
	.type	__hip_cuid_d160bd2d62541bb6,@object ; @__hip_cuid_d160bd2d62541bb6
	.section	.bss,"aw",@nobits
	.globl	__hip_cuid_d160bd2d62541bb6
__hip_cuid_d160bd2d62541bb6:
	.byte	0                               ; 0x0
	.size	__hip_cuid_d160bd2d62541bb6, 1

	.ident	"AMD clang version 22.0.0git (https://github.com/RadeonOpenCompute/llvm-project roc-7.2.4 26084 f58b06dce1f9c15707c5f808fd002e18c2accf7e)"
	.section	".note.GNU-stack","",@progbits
	.addrsig
	.addrsig_sym __hip_cuid_d160bd2d62541bb6
	.amdgpu_metadata
---
amdhsa.kernels:
  - .args:
      - .actual_access:  read_only
        .address_space:  global
        .offset:         0
        .size:           8
        .value_kind:     global_buffer
      - .actual_access:  read_only
        .address_space:  global
        .offset:         8
        .size:           8
        .value_kind:     global_buffer
      - .address_space:  global
        .offset:         16
        .size:           8
        .value_kind:     global_buffer
      - .offset:         24
        .size:           4
        .value_kind:     by_value
      - .offset:         32
        .size:           4
        .value_kind:     hidden_block_count_x
      - .offset:         36
        .size:           4
        .value_kind:     hidden_block_count_y
      - .offset:         40
        .size:           4
        .value_kind:     hidden_block_count_z
      - .offset:         44
        .size:           2
        .value_kind:     hidden_group_size_x
      - .offset:         46
        .size:           2
        .value_kind:     hidden_group_size_y
      - .offset:         48
        .size:           2
        .value_kind:     hidden_group_size_z
      - .offset:         50
        .size:           2
        .value_kind:     hidden_remainder_x
      - .offset:         52
        .size:           2
        .value_kind:     hidden_remainder_y
      - .offset:         54
        .size:           2
        .value_kind:     hidden_remainder_z
      - .offset:         72
        .size:           8
        .value_kind:     hidden_global_offset_x
      - .offset:         80
        .size:           8
        .value_kind:     hidden_global_offset_y
      - .offset:         88
        .size:           8
        .value_kind:     hidden_global_offset_z
      - .offset:         96
        .size:           2
        .value_kind:     hidden_grid_dims
    .group_segment_fixed_size: 1024
    .kernarg_segment_align: 8
    .kernarg_segment_size: 288
    .language:       OpenCL C
    .language_version:
      - 2
      - 0
    .max_flat_workgroup_size: 1024
    .name:           _Z9kQuantizeILi256ELi256EEvPKfS1_Phi
    .private_segment_fixed_size: 0
    .sgpr_count:     22
    .sgpr_spill_count: 0
    .symbol:         _Z9kQuantizeILi256ELi256EEvPKfS1_Phi.kd
    .uniform_work_group_size: 1
    .uses_dynamic_stack: false
    .vgpr_count:     38
    .vgpr_spill_count: 0
    .wavefront_size: 32
amdhsa.target:   amdgcn-amd-amdhsa--gfx1250
amdhsa.version:
  - 1
  - 2
...

	.end_amdgpu_metadata
